;; amdgpu-corpus repo=llvm/llvm-project kind=harvested arch=n/a opt=n/a
// NOTE: Assertions have been autogenerated by utils/update_mc_test_checks.py UTC_ARGS: --unique --sort --version 6
// RUN: llvm-mc -triple=amdgcn -mcpu=gfx1010 -show-encoding < %s | FileCheck -check-prefix=GFX10 %s

v_cmpx_class_f32 v0, 1
// GFX10: v_cmpx_class_f32_e64 v0, 1              ; encoding: [0x7e,0x00,0x98,0xd4,0x00,0x03,0x01,0x02]

v_cmpx_class_f32_e64 v0, 1
// GFX10: v_cmpx_class_f32_e64 v0, 1              ; encoding: [0x7e,0x00,0x98,0xd4,0x00,0x03,0x01,0x02]

v_cmpx_le_f16 v3, v4 src0_sel:WORD_1 src1_sel:DWORD
// GFX10: v_cmpx_le_f16_sdwa v3, v4 src0_sel:WORD_1 src1_sel:DWORD ; encoding: [0xf9,0x08,0xb6,0x7d,0x03,0x00,0x05,0x06]

v_cmpx_le_f16_sdwa v3, v4 src0_sel:WORD_1 src1_sel:DWORD
// GFX10: v_cmpx_le_f16_sdwa v3, v4 src0_sel:WORD_1 src1_sel:DWORD ; encoding: [0xf9,0x08,0xb6,0x7d,0x03,0x00,0x05,0x06]

v_cmpx_le_f32 -|v1|, v0
// GFX10: v_cmpx_le_f32_e64 -|v1|, v0             ; encoding: [0x7e,0x01,0x13,0xd4,0x01,0x01,0x02,0x22]

v_cmpx_le_f32 -|v1|, v0 clamp
// GFX10: v_cmpx_le_f32_e64 -|v1|, v0 clamp       ; encoding: [0x7e,0x81,0x13,0xd4,0x01,0x01,0x02,0x22]

v_cmpx_le_f32 v1, v0
// GFX10: v_cmpx_le_f32_e32 v1, v0                ; encoding: [0x01,0x01,0x26,0x7c]

v_cmpx_le_f32_e32 v1, v0
// GFX10: v_cmpx_le_f32_e32 v1, v0                ; encoding: [0x01,0x01,0x26,0x7c]

v_cmpx_le_f32_e64 -|v1|, v0
// GFX10: v_cmpx_le_f32_e64 -|v1|, v0             ; encoding: [0x7e,0x01,0x13,0xd4,0x01,0x01,0x02,0x22]

v_cmpx_le_f32_e64 v1, v0
// GFX10: v_cmpx_le_f32_e64 v1, v0                ; encoding: [0x7e,0x00,0x13,0xd4,0x01,0x01,0x02,0x02]

v_cmpx_le_u32 0, v0
// GFX10: v_cmpx_le_u32_e32 0, v0                 ; encoding: [0x80,0x00,0xa6,0x7d]

v_cmpx_le_u32_e32 0, v0
// GFX10: v_cmpx_le_u32_e32 0, v0                 ; encoding: [0x80,0x00,0xa6,0x7d]

v_cmpx_le_u32_e64 0, v0
// GFX10: v_cmpx_le_u32_e64 0, v0                 ; encoding: [0x7e,0x00,0xd3,0xd4,0x80,0x00,0x02,0x02]
